;; amdgpu-corpus repo=ROCm/rocm-examples kind=compiled arch=gfx950 opt=O3
	.amdgcn_target "amdgcn-amd-amdhsa--gfx950"
	.amdhsa_code_object_version 6
	.text
	.protected	_Z15hgemm_rocwmma_djjjPKDF16_S0_S0_PDF16_jjjjff ; -- Begin function _Z15hgemm_rocwmma_djjjPKDF16_S0_S0_PDF16_jjjjff
	.globl	_Z15hgemm_rocwmma_djjjPKDF16_S0_S0_PDF16_jjjjff
	.p2align	8
	.type	_Z15hgemm_rocwmma_djjjPKDF16_S0_S0_PDF16_jjjjff,@function
_Z15hgemm_rocwmma_djjjPKDF16_S0_S0_PDF16_jjjjff: ; @_Z15hgemm_rocwmma_djjjPKDF16_S0_S0_PDF16_jjjjff
; %bb.0:
	s_load_dword s4, s[0:1], 0x54
	s_load_dwordx4 s[16:19], s[0:1], 0x0
	v_and_b32_e32 v1, 0x3ff, v0
	v_bfe_u32 v0, v0, 10, 10
	s_waitcnt lgkmcnt(0)
	s_lshr_b32 s5, s4, 16
	s_and_b32 s4, s4, 0xffff
	s_mul_i32 s2, s2, s4
	v_add_u32_e32 v2, s2, v1
	s_mul_i32 s3, s3, s5
	v_lshrrev_b32_e32 v2, 2, v2
	v_and_b32_e32 v5, 0x3ffffff0, v2
	v_add_lshl_u32 v4, s3, v0, 4
	v_cmp_gt_u32_e32 vcc, s16, v5
	v_cmp_gt_u32_e64 s[2:3], s17, v4
	s_and_b64 s[2:3], vcc, s[2:3]
	s_and_saveexec_b64 s[4:5], s[2:3]
	s_cbranch_execz .LBB0_7
; %bb.1:
	s_load_dwordx8 s[4:11], s[0:1], 0x10
	s_load_dwordx4 s[12:15], s[0:1], 0x30
	s_load_dwordx2 s[2:3], s[0:1], 0x40
	s_mov_b32 s0, 0
	s_cmp_lg_u32 s18, 0
	v_and_b32_e32 v7, 15, v1
	v_lshrrev_b32_e32 v9, 2, v1
	s_cbranch_scc0 .LBB0_8
; %bb.2:
	v_and_b32_e32 v8, 15, v1
	v_and_b32_e32 v6, 12, v9
	s_waitcnt lgkmcnt(0)
	v_mov_b32_e32 v2, s4
	v_mov_b32_e32 v3, s5
	v_mad_u64_u32 v[10:11], s[4:5], s12, v8, v[6:7]
	v_mov_b32_e32 v11, 0
	v_mad_u64_u32 v[0:1], s[4:5], s13, v8, v[6:7]
	v_mov_b32_e32 v14, s6
	v_mov_b32_e32 v15, s7
	;; [unrolled: 1-line block ×3, first 2 shown]
	v_mul_lo_u32 v16, v5, s12
	v_lshl_add_u64 v[12:13], v[10:11], 1, v[2:3]
	v_mul_lo_u32 v17, v4, s13
	v_lshl_add_u64 v[14:15], v[0:1], 1, v[14:15]
	v_mov_b32_e32 v0, v11
	v_mov_b32_e32 v2, v11
	;; [unrolled: 1-line block ×3, first 2 shown]
.LBB0_3:                                ; =>This Inner Loop Header: Depth=1
	v_add_u32_e32 v10, s0, v16
	v_lshl_add_u64 v[18:19], v[10:11], 1, v[12:13]
	global_load_dwordx2 v[18:19], v[18:19], off
	v_add_u32_e32 v10, s0, v17
	v_lshl_add_u64 v[20:21], v[10:11], 1, v[14:15]
	global_load_dwordx2 v[20:21], v[20:21], off
	s_add_i32 s0, s0, 16
	s_cmp_ge_u32 s0, s18
	s_waitcnt vmcnt(0)
	v_mfma_f32_16x16x16_f16 v[0:3], v[18:19], v[20:21], v[0:3]
	s_cbranch_scc0 .LBB0_3
; %bb.4:
	s_branch .LBB0_6
.LBB0_5:
	v_mov_b32_e32 v0, 0
	v_and_b32_e32 v6, 12, v9
	v_mov_b32_e32 v8, v7
	v_mov_b32_e32 v1, v0
	;; [unrolled: 1-line block ×4, first 2 shown]
.LBB0_6:
	s_waitcnt lgkmcnt(0)
	v_mad_u64_u32 v[12:13], s[0:1], v5, s14, v[4:5]
	v_mov_b32_e32 v10, s8
	v_mov_b32_e32 v11, s9
	v_mov_b32_e32 v13, 0
	v_mad_u64_u32 v[14:15], s[0:1], s14, v6, v[8:9]
	v_lshl_add_u64 v[10:11], v[12:13], 1, v[10:11]
	v_mov_b32_e32 v15, v13
	v_add_u32_e32 v12, s14, v14
	v_lshl_add_u64 v[16:17], v[14:15], 1, v[10:11]
	v_lshl_add_u64 v[14:15], v[12:13], 1, v[10:11]
	v_add_u32_e32 v12, s14, v12
	v_lshl_add_u64 v[18:19], v[12:13], 1, v[10:11]
	v_add_u32_e32 v12, s14, v12
	v_lshl_add_u64 v[10:11], v[12:13], 1, v[10:11]
	global_load_ushort v20, v[16:17], off
	global_load_ushort v21, v[18:19], off
	;; [unrolled: 1-line block ×4, first 2 shown]
	v_mad_u64_u32 v[4:5], s[0:1], v5, s15, v[4:5]
	v_mov_b32_e32 v10, s10
	v_mov_b32_e32 v11, s11
	v_mad_u64_u32 v[6:7], s[0:1], s15, v6, v[8:9]
	v_mov_b32_e32 v5, v13
	v_mov_b32_e32 v7, v13
	v_lshl_add_u64 v[4:5], v[4:5], 1, v[10:11]
	v_add_u32_e32 v12, s15, v6
	v_lshl_add_u64 v[8:9], v[6:7], 1, v[4:5]
	v_lshl_add_u64 v[6:7], v[12:13], 1, v[4:5]
	v_add_u32_e32 v12, s15, v12
	v_lshl_add_u64 v[10:11], v[12:13], 1, v[4:5]
	v_add_u32_e32 v12, s15, v12
	v_lshl_add_u64 v[4:5], v[12:13], 1, v[4:5]
	s_waitcnt vmcnt(3)
	v_cvt_f32_f16_e32 v12, v20
	s_waitcnt vmcnt(2)
	v_cvt_f32_f16_e32 v13, v21
	;; [unrolled: 2-line block ×4, first 2 shown]
	v_mul_f32_e32 v12, s3, v12
	v_fma_mixlo_f16 v0, s2, v0, v12
	v_mul_f32_e32 v12, s3, v13
	v_mul_f32_e32 v13, s3, v14
	v_fma_mixlo_f16 v2, s2, v2, v12
	v_mul_f32_e32 v12, s3, v15
	global_store_short v[8:9], v0, off
	v_fma_mixlo_f16 v0, s2, v1, v13
	v_fma_mixlo_f16 v1, s2, v3, v12
	global_store_short v[6:7], v0, off
	global_store_short v[10:11], v2, off
	global_store_short v[4:5], v1, off
.LBB0_7:
	s_endpgm
.LBB0_8:
                                        ; implicit-def: $vgpr3
                                        ; implicit-def: $vgpr8
                                        ; implicit-def: $vgpr6
	s_cbranch_execnz .LBB0_5
	s_branch .LBB0_6
	.section	.rodata,"a",@progbits
	.p2align	6, 0x0
	.amdhsa_kernel _Z15hgemm_rocwmma_djjjPKDF16_S0_S0_PDF16_jjjjff
		.amdhsa_group_segment_fixed_size 0
		.amdhsa_private_segment_fixed_size 0
		.amdhsa_kernarg_size 328
		.amdhsa_user_sgpr_count 2
		.amdhsa_user_sgpr_dispatch_ptr 0
		.amdhsa_user_sgpr_queue_ptr 0
		.amdhsa_user_sgpr_kernarg_segment_ptr 1
		.amdhsa_user_sgpr_dispatch_id 0
		.amdhsa_user_sgpr_kernarg_preload_length 0
		.amdhsa_user_sgpr_kernarg_preload_offset 0
		.amdhsa_user_sgpr_private_segment_size 0
		.amdhsa_uses_dynamic_stack 0
		.amdhsa_enable_private_segment 0
		.amdhsa_system_sgpr_workgroup_id_x 1
		.amdhsa_system_sgpr_workgroup_id_y 1
		.amdhsa_system_sgpr_workgroup_id_z 0
		.amdhsa_system_sgpr_workgroup_info 0
		.amdhsa_system_vgpr_workitem_id 1
		.amdhsa_next_free_vgpr 24
		.amdhsa_next_free_sgpr 20
		.amdhsa_accum_offset 24
		.amdhsa_reserve_vcc 1
		.amdhsa_float_round_mode_32 0
		.amdhsa_float_round_mode_16_64 0
		.amdhsa_float_denorm_mode_32 3
		.amdhsa_float_denorm_mode_16_64 3
		.amdhsa_dx10_clamp 1
		.amdhsa_ieee_mode 1
		.amdhsa_fp16_overflow 0
		.amdhsa_tg_split 0
		.amdhsa_exception_fp_ieee_invalid_op 0
		.amdhsa_exception_fp_denorm_src 0
		.amdhsa_exception_fp_ieee_div_zero 0
		.amdhsa_exception_fp_ieee_overflow 0
		.amdhsa_exception_fp_ieee_underflow 0
		.amdhsa_exception_fp_ieee_inexact 0
		.amdhsa_exception_int_div_zero 0
	.end_amdhsa_kernel
	.text
.Lfunc_end0:
	.size	_Z15hgemm_rocwmma_djjjPKDF16_S0_S0_PDF16_jjjjff, .Lfunc_end0-_Z15hgemm_rocwmma_djjjPKDF16_S0_S0_PDF16_jjjjff
                                        ; -- End function
	.set _Z15hgemm_rocwmma_djjjPKDF16_S0_S0_PDF16_jjjjff.num_vgpr, 24
	.set _Z15hgemm_rocwmma_djjjPKDF16_S0_S0_PDF16_jjjjff.num_agpr, 0
	.set _Z15hgemm_rocwmma_djjjPKDF16_S0_S0_PDF16_jjjjff.numbered_sgpr, 20
	.set _Z15hgemm_rocwmma_djjjPKDF16_S0_S0_PDF16_jjjjff.num_named_barrier, 0
	.set _Z15hgemm_rocwmma_djjjPKDF16_S0_S0_PDF16_jjjjff.private_seg_size, 0
	.set _Z15hgemm_rocwmma_djjjPKDF16_S0_S0_PDF16_jjjjff.uses_vcc, 1
	.set _Z15hgemm_rocwmma_djjjPKDF16_S0_S0_PDF16_jjjjff.uses_flat_scratch, 0
	.set _Z15hgemm_rocwmma_djjjPKDF16_S0_S0_PDF16_jjjjff.has_dyn_sized_stack, 0
	.set _Z15hgemm_rocwmma_djjjPKDF16_S0_S0_PDF16_jjjjff.has_recursion, 0
	.set _Z15hgemm_rocwmma_djjjPKDF16_S0_S0_PDF16_jjjjff.has_indirect_call, 0
	.section	.AMDGPU.csdata,"",@progbits
; Kernel info:
; codeLenInByte = 664
; TotalNumSgprs: 26
; NumVgprs: 24
; NumAgprs: 0
; TotalNumVgprs: 24
; ScratchSize: 0
; MemoryBound: 0
; FloatMode: 240
; IeeeMode: 1
; LDSByteSize: 0 bytes/workgroup (compile time only)
; SGPRBlocks: 3
; VGPRBlocks: 2
; NumSGPRsForWavesPerEU: 26
; NumVGPRsForWavesPerEU: 24
; AccumOffset: 24
; Occupancy: 8
; WaveLimiterHint : 0
; COMPUTE_PGM_RSRC2:SCRATCH_EN: 0
; COMPUTE_PGM_RSRC2:USER_SGPR: 2
; COMPUTE_PGM_RSRC2:TRAP_HANDLER: 0
; COMPUTE_PGM_RSRC2:TGID_X_EN: 1
; COMPUTE_PGM_RSRC2:TGID_Y_EN: 1
; COMPUTE_PGM_RSRC2:TGID_Z_EN: 0
; COMPUTE_PGM_RSRC2:TIDIG_COMP_CNT: 1
; COMPUTE_PGM_RSRC3_GFX90A:ACCUM_OFFSET: 5
; COMPUTE_PGM_RSRC3_GFX90A:TG_SPLIT: 0
	.text
	.p2alignl 6, 3212836864
	.fill 256, 4, 3212836864
	.section	.AMDGPU.gpr_maximums,"",@progbits
	.set amdgpu.max_num_vgpr, 0
	.set amdgpu.max_num_agpr, 0
	.set amdgpu.max_num_sgpr, 0
	.text
	.type	__hip_cuid_a36f903ffce0a36e,@object ; @__hip_cuid_a36f903ffce0a36e
	.section	.bss,"aw",@nobits
	.globl	__hip_cuid_a36f903ffce0a36e
__hip_cuid_a36f903ffce0a36e:
	.byte	0                               ; 0x0
	.size	__hip_cuid_a36f903ffce0a36e, 1

	.ident	"AMD clang version 22.0.0git (https://github.com/RadeonOpenCompute/llvm-project roc-7.2.4 26084 f58b06dce1f9c15707c5f808fd002e18c2accf7e)"
	.section	".note.GNU-stack","",@progbits
	.addrsig
	.addrsig_sym __hip_cuid_a36f903ffce0a36e
	.amdgpu_metadata
---
amdhsa.kernels:
  - .agpr_count:     0
    .args:
      - .offset:         0
        .size:           4
        .value_kind:     by_value
      - .offset:         4
        .size:           4
        .value_kind:     by_value
      - .offset:         8
        .size:           4
        .value_kind:     by_value
      - .address_space:  global
        .offset:         16
        .size:           8
        .value_kind:     global_buffer
      - .address_space:  global
        .offset:         24
        .size:           8
        .value_kind:     global_buffer
      - .address_space:  global
        .offset:         32
        .size:           8
        .value_kind:     global_buffer
      - .address_space:  global
        .offset:         40
        .size:           8
        .value_kind:     global_buffer
      - .offset:         48
        .size:           4
        .value_kind:     by_value
      - .offset:         52
        .size:           4
        .value_kind:     by_value
      - .offset:         56
        .size:           4
        .value_kind:     by_value
      - .offset:         60
        .size:           4
        .value_kind:     by_value
      - .offset:         64
        .size:           4
        .value_kind:     by_value
      - .offset:         68
        .size:           4
        .value_kind:     by_value
      - .offset:         72
        .size:           4
        .value_kind:     hidden_block_count_x
      - .offset:         76
        .size:           4
        .value_kind:     hidden_block_count_y
      - .offset:         80
        .size:           4
        .value_kind:     hidden_block_count_z
      - .offset:         84
        .size:           2
        .value_kind:     hidden_group_size_x
      - .offset:         86
        .size:           2
        .value_kind:     hidden_group_size_y
      - .offset:         88
        .size:           2
        .value_kind:     hidden_group_size_z
      - .offset:         90
        .size:           2
        .value_kind:     hidden_remainder_x
      - .offset:         92
        .size:           2
        .value_kind:     hidden_remainder_y
      - .offset:         94
        .size:           2
        .value_kind:     hidden_remainder_z
      - .offset:         112
        .size:           8
        .value_kind:     hidden_global_offset_x
      - .offset:         120
        .size:           8
        .value_kind:     hidden_global_offset_y
      - .offset:         128
        .size:           8
        .value_kind:     hidden_global_offset_z
      - .offset:         136
        .size:           2
        .value_kind:     hidden_grid_dims
    .group_segment_fixed_size: 0
    .kernarg_segment_align: 8
    .kernarg_segment_size: 328
    .language:       OpenCL C
    .language_version:
      - 2
      - 0
    .max_flat_workgroup_size: 1024
    .name:           _Z15hgemm_rocwmma_djjjPKDF16_S0_S0_PDF16_jjjjff
    .private_segment_fixed_size: 0
    .sgpr_count:     26
    .sgpr_spill_count: 0
    .symbol:         _Z15hgemm_rocwmma_djjjPKDF16_S0_S0_PDF16_jjjjff.kd
    .uniform_work_group_size: 1
    .uses_dynamic_stack: false
    .vgpr_count:     24
    .vgpr_spill_count: 0
    .wavefront_size: 64
amdhsa.target:   amdgcn-amd-amdhsa--gfx950
amdhsa.version:
  - 1
  - 2
...

	.end_amdgpu_metadata
